;; amdgpu-corpus repo=ROCm/rocFFT kind=compiled arch=gfx906 opt=O3
	.text
	.amdgcn_target "amdgcn-amd-amdhsa--gfx906"
	.amdhsa_code_object_version 6
	.protected	fft_rtc_fwd_len90_factors_3_3_10_wgs_63_tpt_9_halfLds_dp_op_CI_CI_unitstride_sbrr_dirReg ; -- Begin function fft_rtc_fwd_len90_factors_3_3_10_wgs_63_tpt_9_halfLds_dp_op_CI_CI_unitstride_sbrr_dirReg
	.globl	fft_rtc_fwd_len90_factors_3_3_10_wgs_63_tpt_9_halfLds_dp_op_CI_CI_unitstride_sbrr_dirReg
	.p2align	8
	.type	fft_rtc_fwd_len90_factors_3_3_10_wgs_63_tpt_9_halfLds_dp_op_CI_CI_unitstride_sbrr_dirReg,@function
fft_rtc_fwd_len90_factors_3_3_10_wgs_63_tpt_9_halfLds_dp_op_CI_CI_unitstride_sbrr_dirReg: ; @fft_rtc_fwd_len90_factors_3_3_10_wgs_63_tpt_9_halfLds_dp_op_CI_CI_unitstride_sbrr_dirReg
; %bb.0:
	s_load_dwordx4 s[8:11], s[4:5], 0x58
	s_load_dwordx4 s[12:15], s[4:5], 0x0
	;; [unrolled: 1-line block ×3, first 2 shown]
	v_mul_u32_u24_e32 v1, 0x1c72, v0
	v_lshrrev_b32_e32 v1, 16, v1
	v_mad_u64_u32 v[1:2], s[0:1], s6, 7, v[1:2]
	v_mov_b32_e32 v3, 0
	v_mov_b32_e32 v6, 0
	;; [unrolled: 1-line block ×3, first 2 shown]
	s_waitcnt lgkmcnt(0)
	v_cmp_lt_u64_e64 s[0:1], s[14:15], 2
	v_mov_b32_e32 v7, 0
	v_mov_b32_e32 v69, v7
	;; [unrolled: 1-line block ×3, first 2 shown]
	s_and_b64 vcc, exec, s[0:1]
	v_mov_b32_e32 v68, v6
	v_mov_b32_e32 v71, v1
	s_cbranch_vccnz .LBB0_8
; %bb.1:
	s_load_dwordx2 s[0:1], s[4:5], 0x10
	s_add_u32 s2, s18, 8
	s_addc_u32 s3, s19, 0
	s_add_u32 s6, s16, 8
	v_mov_b32_e32 v6, 0
	s_addc_u32 s7, s17, 0
	v_mov_b32_e32 v7, 0
	s_waitcnt lgkmcnt(0)
	s_add_u32 s20, s0, 8
	v_mov_b32_e32 v69, v7
	v_mov_b32_e32 v9, v2
	s_addc_u32 s21, s1, 0
	s_mov_b64 s[22:23], 1
	v_mov_b32_e32 v68, v6
	v_mov_b32_e32 v8, v1
.LBB0_2:                                ; =>This Inner Loop Header: Depth=1
	s_load_dwordx2 s[24:25], s[20:21], 0x0
                                        ; implicit-def: $vgpr71_vgpr72
	s_waitcnt lgkmcnt(0)
	v_or_b32_e32 v4, s25, v9
	v_cmp_ne_u64_e32 vcc, 0, v[3:4]
	s_and_saveexec_b64 s[0:1], vcc
	s_xor_b64 s[26:27], exec, s[0:1]
	s_cbranch_execz .LBB0_4
; %bb.3:                                ;   in Loop: Header=BB0_2 Depth=1
	v_cvt_f32_u32_e32 v2, s24
	v_cvt_f32_u32_e32 v4, s25
	s_sub_u32 s0, 0, s24
	s_subb_u32 s1, 0, s25
	v_mac_f32_e32 v2, 0x4f800000, v4
	v_rcp_f32_e32 v2, v2
	v_mul_f32_e32 v2, 0x5f7ffffc, v2
	v_mul_f32_e32 v4, 0x2f800000, v2
	v_trunc_f32_e32 v4, v4
	v_mac_f32_e32 v2, 0xcf800000, v4
	v_cvt_u32_f32_e32 v4, v4
	v_cvt_u32_f32_e32 v2, v2
	v_mul_lo_u32 v5, s0, v4
	v_mul_hi_u32 v10, s0, v2
	v_mul_lo_u32 v12, s1, v2
	v_mul_lo_u32 v11, s0, v2
	v_add_u32_e32 v5, v10, v5
	v_add_u32_e32 v5, v5, v12
	v_mul_hi_u32 v10, v2, v11
	v_mul_lo_u32 v12, v2, v5
	v_mul_hi_u32 v14, v2, v5
	v_mul_hi_u32 v13, v4, v11
	v_mul_lo_u32 v11, v4, v11
	v_mul_hi_u32 v15, v4, v5
	v_add_co_u32_e32 v10, vcc, v10, v12
	v_addc_co_u32_e32 v12, vcc, 0, v14, vcc
	v_mul_lo_u32 v5, v4, v5
	v_add_co_u32_e32 v10, vcc, v10, v11
	v_addc_co_u32_e32 v10, vcc, v12, v13, vcc
	v_addc_co_u32_e32 v11, vcc, 0, v15, vcc
	v_add_co_u32_e32 v5, vcc, v10, v5
	v_addc_co_u32_e32 v10, vcc, 0, v11, vcc
	v_add_co_u32_e32 v2, vcc, v2, v5
	v_addc_co_u32_e32 v4, vcc, v4, v10, vcc
	v_mul_lo_u32 v5, s0, v4
	v_mul_hi_u32 v10, s0, v2
	v_mul_lo_u32 v11, s1, v2
	v_mul_lo_u32 v12, s0, v2
	v_add_u32_e32 v5, v10, v5
	v_add_u32_e32 v5, v5, v11
	v_mul_lo_u32 v13, v2, v5
	v_mul_hi_u32 v14, v2, v12
	v_mul_hi_u32 v15, v2, v5
	;; [unrolled: 1-line block ×3, first 2 shown]
	v_mul_lo_u32 v12, v4, v12
	v_mul_hi_u32 v10, v4, v5
	v_add_co_u32_e32 v13, vcc, v14, v13
	v_addc_co_u32_e32 v14, vcc, 0, v15, vcc
	v_mul_lo_u32 v5, v4, v5
	v_add_co_u32_e32 v12, vcc, v13, v12
	v_addc_co_u32_e32 v11, vcc, v14, v11, vcc
	v_addc_co_u32_e32 v10, vcc, 0, v10, vcc
	v_add_co_u32_e32 v5, vcc, v11, v5
	v_addc_co_u32_e32 v10, vcc, 0, v10, vcc
	v_add_co_u32_e32 v2, vcc, v2, v5
	v_addc_co_u32_e32 v10, vcc, v4, v10, vcc
	v_mad_u64_u32 v[4:5], s[0:1], v8, v10, 0
	v_mul_hi_u32 v11, v8, v2
	v_add_co_u32_e32 v12, vcc, v11, v4
	v_addc_co_u32_e32 v13, vcc, 0, v5, vcc
	v_mad_u64_u32 v[4:5], s[0:1], v9, v2, 0
	v_mad_u64_u32 v[10:11], s[0:1], v9, v10, 0
	v_add_co_u32_e32 v2, vcc, v12, v4
	v_addc_co_u32_e32 v2, vcc, v13, v5, vcc
	v_addc_co_u32_e32 v4, vcc, 0, v11, vcc
	v_add_co_u32_e32 v2, vcc, v2, v10
	v_addc_co_u32_e32 v10, vcc, 0, v4, vcc
	v_mul_lo_u32 v11, s25, v2
	v_mul_lo_u32 v12, s24, v10
	v_mad_u64_u32 v[4:5], s[0:1], s24, v2, 0
	v_add3_u32 v5, v5, v12, v11
	v_sub_u32_e32 v11, v9, v5
	v_mov_b32_e32 v12, s25
	v_sub_co_u32_e32 v4, vcc, v8, v4
	v_subb_co_u32_e64 v11, s[0:1], v11, v12, vcc
	v_subrev_co_u32_e64 v12, s[0:1], s24, v4
	v_subbrev_co_u32_e64 v11, s[0:1], 0, v11, s[0:1]
	v_cmp_le_u32_e64 s[0:1], s25, v11
	v_cndmask_b32_e64 v13, 0, -1, s[0:1]
	v_cmp_le_u32_e64 s[0:1], s24, v12
	v_cndmask_b32_e64 v12, 0, -1, s[0:1]
	v_cmp_eq_u32_e64 s[0:1], s25, v11
	v_cndmask_b32_e64 v11, v13, v12, s[0:1]
	v_add_co_u32_e64 v12, s[0:1], 2, v2
	v_addc_co_u32_e64 v13, s[0:1], 0, v10, s[0:1]
	v_add_co_u32_e64 v14, s[0:1], 1, v2
	v_addc_co_u32_e64 v15, s[0:1], 0, v10, s[0:1]
	v_subb_co_u32_e32 v5, vcc, v9, v5, vcc
	v_cmp_ne_u32_e64 s[0:1], 0, v11
	v_cmp_le_u32_e32 vcc, s25, v5
	v_cndmask_b32_e64 v11, v15, v13, s[0:1]
	v_cndmask_b32_e64 v13, 0, -1, vcc
	v_cmp_le_u32_e32 vcc, s24, v4
	v_cndmask_b32_e64 v4, 0, -1, vcc
	v_cmp_eq_u32_e32 vcc, s25, v5
	v_cndmask_b32_e32 v4, v13, v4, vcc
	v_cmp_ne_u32_e32 vcc, 0, v4
	v_cndmask_b32_e64 v4, v14, v12, s[0:1]
	v_cndmask_b32_e32 v72, v10, v11, vcc
	v_cndmask_b32_e32 v71, v2, v4, vcc
.LBB0_4:                                ;   in Loop: Header=BB0_2 Depth=1
	s_andn2_saveexec_b64 s[0:1], s[26:27]
	s_cbranch_execz .LBB0_6
; %bb.5:                                ;   in Loop: Header=BB0_2 Depth=1
	v_cvt_f32_u32_e32 v2, s24
	s_sub_i32 s26, 0, s24
	v_mov_b32_e32 v72, v3
	v_rcp_iflag_f32_e32 v2, v2
	v_mul_f32_e32 v2, 0x4f7ffffe, v2
	v_cvt_u32_f32_e32 v2, v2
	v_mul_lo_u32 v4, s26, v2
	v_mul_hi_u32 v4, v2, v4
	v_add_u32_e32 v2, v2, v4
	v_mul_hi_u32 v2, v8, v2
	v_mul_lo_u32 v4, v2, s24
	v_add_u32_e32 v5, 1, v2
	v_sub_u32_e32 v4, v8, v4
	v_subrev_u32_e32 v10, s24, v4
	v_cmp_le_u32_e32 vcc, s24, v4
	v_cndmask_b32_e32 v4, v4, v10, vcc
	v_cndmask_b32_e32 v2, v2, v5, vcc
	v_add_u32_e32 v5, 1, v2
	v_cmp_le_u32_e32 vcc, s24, v4
	v_cndmask_b32_e32 v71, v2, v5, vcc
.LBB0_6:                                ;   in Loop: Header=BB0_2 Depth=1
	s_or_b64 exec, exec, s[0:1]
	v_mul_lo_u32 v2, v72, s24
	v_mul_lo_u32 v10, v71, s25
	v_mad_u64_u32 v[4:5], s[0:1], v71, s24, 0
	s_load_dwordx2 s[0:1], s[6:7], 0x0
	s_load_dwordx2 s[24:25], s[2:3], 0x0
	v_add3_u32 v2, v5, v10, v2
	v_sub_co_u32_e32 v4, vcc, v8, v4
	v_subb_co_u32_e32 v2, vcc, v9, v2, vcc
	s_waitcnt lgkmcnt(0)
	v_mul_lo_u32 v5, s0, v2
	v_mul_lo_u32 v8, s1, v4
	v_mad_u64_u32 v[6:7], s[0:1], s0, v4, v[6:7]
	s_add_u32 s22, s22, 1
	s_addc_u32 s23, s23, 0
	s_add_u32 s2, s2, 8
	v_mul_lo_u32 v2, s24, v2
	v_mul_lo_u32 v9, s25, v4
	v_mad_u64_u32 v[68:69], s[0:1], s24, v4, v[68:69]
	v_add3_u32 v7, v8, v7, v5
	s_addc_u32 s3, s3, 0
	v_mov_b32_e32 v4, s14
	s_add_u32 s6, s6, 8
	v_mov_b32_e32 v5, s15
	s_addc_u32 s7, s7, 0
	v_cmp_ge_u64_e32 vcc, s[22:23], v[4:5]
	s_add_u32 s20, s20, 8
	v_add3_u32 v69, v9, v69, v2
	s_addc_u32 s21, s21, 0
	s_cbranch_vccnz .LBB0_8
; %bb.7:                                ;   in Loop: Header=BB0_2 Depth=1
	v_mov_b32_e32 v8, v71
	v_mov_b32_e32 v9, v72
	s_branch .LBB0_2
.LBB0_8:
	s_load_dwordx2 s[0:1], s[4:5], 0x28
	s_lshl_b64 s[6:7], s[14:15], 3
	s_add_u32 s2, s18, s6
	s_addc_u32 s3, s19, s7
                                        ; implicit-def: $sgpr14
                                        ; implicit-def: $vgpr75
	s_waitcnt lgkmcnt(0)
	v_cmp_gt_u64_e32 vcc, s[0:1], v[71:72]
	v_cmp_le_u64_e64 s[0:1], s[0:1], v[71:72]
	s_and_saveexec_b64 s[4:5], s[0:1]
	s_xor_b64 s[0:1], exec, s[4:5]
; %bb.9:
	s_mov_b32 s4, 0x1c71c71d
	v_mul_hi_u32 v2, v0, s4
	s_mov_b32 s14, 0
                                        ; implicit-def: $vgpr6_vgpr7
	v_mul_u32_u24_e32 v2, 9, v2
	v_sub_u32_e32 v75, v0, v2
                                        ; implicit-def: $vgpr0
; %bb.10:
	s_or_saveexec_b64 s[4:5], s[0:1]
	s_load_dwordx2 s[2:3], s[2:3], 0x0
	v_mov_b32_e32 v70, s14
                                        ; implicit-def: $vgpr58_vgpr59
                                        ; implicit-def: $vgpr54_vgpr55
                                        ; implicit-def: $vgpr50_vgpr51
                                        ; implicit-def: $vgpr42_vgpr43
                                        ; implicit-def: $vgpr46_vgpr47
                                        ; implicit-def: $vgpr34_vgpr35
                                        ; implicit-def: $vgpr26_vgpr27
                                        ; implicit-def: $vgpr62_vgpr63
                                        ; implicit-def: $vgpr4_vgpr5
                                        ; implicit-def: $vgpr30_vgpr31
                                        ; implicit-def: $vgpr66_vgpr67
                                        ; implicit-def: $vgpr38_vgpr39
	s_xor_b64 exec, exec, s[4:5]
	s_cbranch_execz .LBB0_14
; %bb.11:
	s_add_u32 s0, s16, s6
	s_addc_u32 s1, s17, s7
	s_load_dwordx2 s[0:1], s[0:1], 0x0
	s_mov_b32 s6, 0x1c71c71d
	v_mul_hi_u32 v4, v0, s6
                                        ; implicit-def: $vgpr48_vgpr49
                                        ; implicit-def: $vgpr52_vgpr53
                                        ; implicit-def: $vgpr56_vgpr57
	s_waitcnt lgkmcnt(0)
	v_mul_lo_u32 v5, s1, v71
	v_mul_lo_u32 v8, s0, v72
	v_mad_u64_u32 v[2:3], s[0:1], s0, v71, 0
	v_mul_u32_u24_e32 v4, 9, v4
	v_sub_u32_e32 v75, v0, v4
	v_add3_u32 v3, v3, v8, v5
	v_lshlrev_b64 v[2:3], 4, v[2:3]
	v_mov_b32_e32 v0, s9
	v_add_co_u32_e64 v4, s[0:1], s8, v2
	v_addc_co_u32_e64 v0, s[0:1], v0, v3, s[0:1]
	v_lshlrev_b64 v[2:3], 4, v[6:7]
	v_add_co_u32_e64 v2, s[0:1], v4, v2
	v_addc_co_u32_e64 v0, s[0:1], v0, v3, s[0:1]
	v_lshlrev_b32_e32 v3, 4, v75
	v_add_co_u32_e64 v6, s[0:1], v2, v3
	v_addc_co_u32_e64 v7, s[0:1], 0, v0, s[0:1]
	global_load_dwordx4 v[36:39], v[6:7], off
	global_load_dwordx4 v[2:5], v[6:7], off offset:144
	global_load_dwordx4 v[28:31], v[6:7], off offset:960
	;; [unrolled: 1-line block ×8, first 2 shown]
	v_cmp_gt_u32_e64 s[0:1], 3, v75
	s_and_saveexec_b64 s[6:7], s[0:1]
	s_cbranch_execz .LBB0_13
; %bb.12:
	global_load_dwordx4 v[48:51], v[6:7], off offset:432
	global_load_dwordx4 v[52:55], v[6:7], off offset:912
	;; [unrolled: 1-line block ×3, first 2 shown]
.LBB0_13:
	s_or_b64 exec, exec, s[6:7]
	v_mov_b32_e32 v70, v75
.LBB0_14:
	s_or_b64 exec, exec, s[4:5]
	s_waitcnt vmcnt(4)
	v_add_f64 v[6:7], v[28:29], v[64:65]
	s_mov_b32 s0, 0x24924925
	v_mul_hi_u32 v0, v1, s0
	v_add_f64 v[8:9], v[64:65], v[36:37]
	v_add_f64 v[10:11], v[66:67], -v[30:31]
	s_mov_b32 s0, 0xe8584caa
	v_sub_u32_e32 v14, v1, v0
	v_lshrrev_b32_e32 v16, 1, v14
	v_fma_f64 v[14:15], v[6:7], -0.5, v[36:37]
	v_add_u32_e32 v0, v16, v0
	v_lshrrev_b32_e32 v0, 2, v0
	v_mul_lo_u32 v0, v0, 7
	s_mov_b32 s1, 0x3febb67a
	v_add_f64 v[7:8], v[28:29], v[8:9]
	s_waitcnt vmcnt(2)
	v_add_f64 v[12:13], v[24:25], v[60:61]
	v_sub_u32_e32 v6, v1, v0
	v_fma_f64 v[0:1], v[10:11], s[0:1], v[14:15]
	v_mul_u32_u24_e32 v6, 0x5a, v6
	v_mad_u32_u24 v37, v75, 24, 0
	v_lshlrev_b32_e32 v78, 3, v6
	v_add_u32_e32 v36, v37, v78
	s_waitcnt vmcnt(0)
	v_add_f64 v[18:19], v[40:41], v[44:45]
	v_add_f64 v[16:17], v[60:61], v[2:3]
	v_fma_f64 v[2:3], v[12:13], -0.5, v[2:3]
	ds_write2_b64 v36, v[7:8], v[0:1] offset1:1
	v_add_f64 v[0:1], v[56:57], v[52:53]
	v_add_f64 v[12:13], v[62:63], -v[26:27]
	v_add_f64 v[20:21], v[44:45], v[32:33]
	v_add_f64 v[22:23], v[46:47], -v[42:43]
	v_fma_f64 v[18:19], v[18:19], -0.5, v[32:33]
	v_add_f64 v[32:33], v[52:53], v[48:49]
	v_add_f64 v[73:74], v[54:55], -v[58:59]
	v_add_f64 v[7:8], v[24:25], v[16:17]
	v_fma_f64 v[48:49], v[0:1], -0.5, v[48:49]
	v_fma_f64 v[16:17], v[12:13], s[0:1], v[2:3]
	s_mov_b32 s5, 0xbfebb67a
	s_mov_b32 s4, s0
	v_fma_f64 v[9:10], v[10:11], s[4:5], v[14:15]
	v_fma_f64 v[11:12], v[12:13], s[4:5], v[2:3]
	v_add_f64 v[13:14], v[40:41], v[20:21]
	v_fma_f64 v[20:21], v[22:23], s[0:1], v[18:19]
	v_add_f64 v[0:1], v[56:57], v[32:33]
	v_fma_f64 v[2:3], v[73:74], s[0:1], v[48:49]
	v_fma_f64 v[48:49], v[73:74], s[4:5], v[48:49]
	;; [unrolled: 1-line block ×3, first 2 shown]
	ds_write2_b64 v36, v[7:8], v[16:17] offset0:27 offset1:28
	ds_write2_b64 v36, v[9:10], v[11:12] offset0:2 offset1:29
	v_add_u32_e32 v7, 0x1b0, v37
	v_add_u32_e32 v32, v7, v78
	v_cmp_gt_u32_e64 s[0:1], 3, v75
	ds_write2_b64 v32, v[13:14], v[20:21] offset1:1
	ds_write_b64 v32, v[18:19] offset:16
	s_and_saveexec_b64 s[4:5], s[0:1]
	s_cbranch_execz .LBB0_16
; %bb.15:
	v_lshl_add_u32 v6, v6, 3, v7
	ds_write2_b64 v6, v[0:1], v[2:3] offset0:27 offset1:28
	ds_write_b64 v6, v[48:49] offset:232
.LBB0_16:
	s_or_b64 exec, exec, s[4:5]
	v_lshlrev_b32_e32 v6, 3, v75
	v_add3_u32 v76, 0, v78, v6
	v_add3_u32 v77, 0, v6, v78
	s_waitcnt lgkmcnt(0)
	; wave barrier
	s_waitcnt lgkmcnt(0)
	ds_read_b64 v[73:74], v76
	ds_read2_b64 v[20:23], v77 offset0:30 offset1:39
	ds_read2_b64 v[12:15], v77 offset0:48 offset1:60
	;; [unrolled: 1-line block ×4, first 2 shown]
	v_add_u32_e32 v33, 0xd8, v36
	s_and_saveexec_b64 s[4:5], s[0:1]
	s_cbranch_execz .LBB0_18
; %bb.17:
	ds_read2_b64 v[0:3], v77 offset0:27 offset1:57
	ds_read_b64 v[48:49], v77 offset:696
.LBB0_18:
	s_or_b64 exec, exec, s[4:5]
	v_add_f64 v[6:7], v[30:31], v[66:67]
	v_add_f64 v[66:67], v[66:67], v[38:39]
	v_add_f64 v[28:29], v[64:65], -v[28:29]
	v_add_f64 v[64:65], v[26:27], v[62:63]
	v_add_f64 v[24:25], v[60:61], -v[24:25]
	v_add_f64 v[60:61], v[42:43], v[46:47]
	s_mov_b32 s4, 0xe8584caa
	s_mov_b32 s5, 0xbfebb67a
	v_fma_f64 v[6:7], v[6:7], -0.5, v[38:39]
	v_add_f64 v[37:38], v[62:63], v[4:5]
	v_add_f64 v[62:63], v[58:59], v[54:55]
	s_mov_b32 s7, 0x3febb67a
	s_mov_b32 s6, s4
	v_fma_f64 v[4:5], v[64:65], -0.5, v[4:5]
	v_add_f64 v[39:40], v[44:45], -v[40:41]
	v_add_f64 v[44:45], v[54:55], v[50:51]
	v_fma_f64 v[64:65], v[28:29], s[4:5], v[6:7]
	v_fma_f64 v[28:29], v[28:29], s[6:7], v[6:7]
	v_add_f64 v[6:7], v[46:47], v[34:35]
	v_fma_f64 v[46:47], v[62:63], -0.5, v[50:51]
	v_add_f64 v[50:51], v[52:53], -v[56:57]
	v_fma_f64 v[34:35], v[60:61], -0.5, v[34:35]
	v_add_f64 v[30:31], v[30:31], v[66:67]
	v_add_f64 v[26:27], v[26:27], v[37:38]
	v_fma_f64 v[37:38], v[24:25], s[4:5], v[4:5]
	v_fma_f64 v[24:25], v[24:25], s[6:7], v[4:5]
	v_add_f64 v[52:53], v[42:43], v[6:7]
	v_add_f64 v[4:5], v[58:59], v[44:45]
	v_fma_f64 v[6:7], v[50:51], s[4:5], v[46:47]
	v_fma_f64 v[42:43], v[50:51], s[6:7], v[46:47]
	;; [unrolled: 1-line block ×4, first 2 shown]
	v_add_u32_e32 v44, 27, v75
	s_waitcnt lgkmcnt(0)
	; wave barrier
	s_waitcnt lgkmcnt(0)
	ds_write2_b64 v36, v[30:31], v[64:65] offset1:1
	ds_write_b64 v36, v[28:29] offset:16
	ds_write2_b64 v33, v[26:27], v[37:38] offset1:1
	ds_write_b64 v33, v[24:25] offset:16
	;; [unrolled: 2-line block ×3, first 2 shown]
	s_and_saveexec_b64 s[4:5], s[0:1]
	s_cbranch_execz .LBB0_20
; %bb.19:
	v_mul_u32_u24_e32 v24, 24, v44
	v_add3_u32 v24, 0, v24, v78
	ds_write2_b64 v24, v[4:5], v[6:7] offset1:1
	ds_write_b64 v24, v[42:43] offset:16
.LBB0_20:
	s_or_b64 exec, exec, s[4:5]
	s_waitcnt lgkmcnt(0)
	; wave barrier
	s_waitcnt lgkmcnt(0)
	ds_read_b64 v[40:41], v76
	ds_read2_b64 v[36:39], v77 offset0:30 offset1:39
	ds_read2_b64 v[28:31], v77 offset0:48 offset1:60
	;; [unrolled: 1-line block ×4, first 2 shown]
	s_and_saveexec_b64 s[4:5], s[0:1]
	s_cbranch_execz .LBB0_22
; %bb.21:
	ds_read2_b64 v[4:7], v77 offset0:27 offset1:57
	ds_read_b64 v[42:43], v77 offset:696
.LBB0_22:
	s_or_b64 exec, exec, s[4:5]
	s_movk_i32 s4, 0xab
	v_mul_lo_u16_sdwa v45, v75, s4 dst_sel:DWORD dst_unused:UNUSED_PAD src0_sel:BYTE_0 src1_sel:DWORD
	v_lshrrev_b16_e32 v45, 9, v45
	v_mul_lo_u16_e32 v46, 3, v45
	v_sub_u16_e32 v46, v75, v46
	v_mov_b32_e32 v47, 5
	v_lshlrev_b32_sdwa v54, v47, v46 dst_sel:DWORD dst_unused:UNUSED_PAD src0_sel:DWORD src1_sel:BYTE_0
	global_load_dwordx4 v[50:53], v54, s[12:13] offset:16
	global_load_dwordx4 v[60:63], v54, s[12:13]
	v_add_u16_e32 v54, 9, v75
	v_mul_lo_u16_sdwa v55, v54, s4 dst_sel:DWORD dst_unused:UNUSED_PAD src0_sel:BYTE_0 src1_sel:DWORD
	v_lshrrev_b16_e32 v55, 9, v55
	v_mul_lo_u16_e32 v56, 3, v55
	v_sub_u16_e32 v54, v54, v56
	v_lshlrev_b32_sdwa v56, v47, v54 dst_sel:DWORD dst_unused:UNUSED_PAD src0_sel:DWORD src1_sel:BYTE_0
	global_load_dwordx4 v[64:67], v56, s[12:13] offset:16
	global_load_dwordx4 v[79:82], v56, s[12:13]
	v_add_u16_e32 v56, 18, v75
	v_mul_lo_u16_sdwa v57, v56, s4 dst_sel:DWORD dst_unused:UNUSED_PAD src0_sel:BYTE_0 src1_sel:DWORD
	v_lshrrev_b16_e32 v57, 9, v57
	v_mul_lo_u16_e32 v58, 3, v57
	v_sub_u16_e32 v58, v56, v58
	v_lshlrev_b32_sdwa v56, v47, v58 dst_sel:DWORD dst_unused:UNUSED_PAD src0_sel:DWORD src1_sel:BYTE_0
	global_load_dwordx4 v[83:86], v56, s[12:13] offset:16
	global_load_dwordx4 v[87:90], v56, s[12:13]
	v_mul_lo_u16_sdwa v56, v44, s4 dst_sel:DWORD dst_unused:UNUSED_PAD src0_sel:BYTE_0 src1_sel:DWORD
	v_lshrrev_b16_e32 v56, 9, v56
	v_mul_lo_u16_e32 v56, 3, v56
	v_sub_u16_e32 v56, v44, v56
	v_lshlrev_b32_sdwa v44, v47, v56 dst_sel:DWORD dst_unused:UNUSED_PAD src0_sel:DWORD src1_sel:BYTE_0
	global_load_dwordx4 v[91:94], v44, s[12:13]
	global_load_dwordx4 v[95:98], v44, s[12:13] offset:16
	s_movk_i32 s8, 0x48
	v_mov_b32_e32 v59, 3
	v_mad_u32_u24 v44, v45, s8, 0
	v_mad_u32_u24 v45, v55, s8, 0
	v_lshlrev_b32_sdwa v46, v59, v46 dst_sel:DWORD dst_unused:UNUSED_PAD src0_sel:DWORD src1_sel:BYTE_0
	v_lshlrev_b32_sdwa v47, v59, v54 dst_sel:DWORD dst_unused:UNUSED_PAD src0_sel:DWORD src1_sel:BYTE_0
	v_mad_u32_u24 v111, v57, s8, 0
	v_lshlrev_b32_sdwa v112, v59, v58 dst_sel:DWORD dst_unused:UNUSED_PAD src0_sel:DWORD src1_sel:BYTE_0
	v_add3_u32 v58, v44, v46, v78
	v_add3_u32 v57, v45, v47, v78
	s_mov_b32 s4, 0xe8584caa
	s_mov_b32 s5, 0x3febb67a
	;; [unrolled: 1-line block ×4, first 2 shown]
	s_waitcnt lgkmcnt(0)
	; wave barrier
	s_waitcnt vmcnt(6) lgkmcnt(0)
	v_mul_f64 v[44:45], v[36:37], v[62:63]
	v_mul_f64 v[46:47], v[20:21], v[62:63]
	;; [unrolled: 1-line block ×4, first 2 shown]
	s_waitcnt vmcnt(5)
	v_mul_f64 v[101:102], v[32:33], v[66:67]
	s_waitcnt vmcnt(4)
	v_mul_f64 v[99:100], v[38:39], v[81:82]
	v_mul_f64 v[81:82], v[22:23], v[81:82]
	v_fma_f64 v[20:21], v[20:21], v[60:61], -v[44:45]
	v_fma_f64 v[44:45], v[14:15], v[50:51], -v[62:63]
	v_mul_f64 v[66:67], v[16:17], v[66:67]
	v_fma_f64 v[54:55], v[36:37], v[60:61], v[46:47]
	s_waitcnt vmcnt(3)
	v_mul_f64 v[105:106], v[34:35], v[85:86]
	s_waitcnt vmcnt(2)
	v_mul_f64 v[103:104], v[28:29], v[89:90]
	v_mul_f64 v[89:90], v[12:13], v[89:90]
	v_fma_f64 v[36:37], v[22:23], v[79:80], -v[99:100]
	v_fma_f64 v[46:47], v[16:17], v[64:65], -v[101:102]
	v_mul_f64 v[85:86], v[18:19], v[85:86]
	s_waitcnt vmcnt(1)
	v_mul_f64 v[107:108], v[6:7], v[93:94]
	v_mul_f64 v[93:94], v[2:3], v[93:94]
	v_fma_f64 v[14:15], v[30:31], v[50:51], v[52:53]
	v_fma_f64 v[50:51], v[38:39], v[79:80], v[81:82]
	v_fma_f64 v[38:39], v[12:13], v[87:88], -v[103:104]
	v_fma_f64 v[18:19], v[18:19], v[83:84], -v[105:106]
	s_waitcnt vmcnt(0)
	v_mul_f64 v[109:110], v[42:43], v[97:98]
	v_fma_f64 v[16:17], v[32:33], v[64:65], v[66:67]
	v_fma_f64 v[22:23], v[2:3], v[91:92], -v[107:108]
	v_add_f64 v[2:3], v[20:21], v[44:45]
	v_fma_f64 v[52:53], v[28:29], v[87:88], v[89:90]
	v_fma_f64 v[28:29], v[6:7], v[91:92], v[93:94]
	v_add_f64 v[6:7], v[36:37], v[46:47]
	v_fma_f64 v[12:13], v[34:35], v[83:84], v[85:86]
	v_add_f64 v[34:35], v[38:39], v[18:19]
	v_mul_f64 v[97:98], v[48:49], v[97:98]
	v_fma_f64 v[30:31], v[48:49], v[95:96], -v[109:110]
	v_add_f64 v[32:33], v[73:74], v[20:21]
	v_add_f64 v[48:49], v[54:55], -v[14:15]
	v_fma_f64 v[2:3], v[2:3], -0.5, v[73:74]
	v_add_f64 v[60:61], v[8:9], v[36:37]
	v_add_f64 v[64:65], v[50:51], -v[16:17]
	v_fma_f64 v[6:7], v[6:7], -0.5, v[8:9]
	;; [unrolled: 3-line block ×3, first 2 shown]
	v_add_f64 v[66:67], v[32:33], v[44:45]
	v_fma_f64 v[73:74], v[48:49], s[4:5], v[2:3]
	v_fma_f64 v[32:33], v[42:43], v[95:96], v[97:98]
	;; [unrolled: 1-line block ×3, first 2 shown]
	v_add_f64 v[60:61], v[60:61], v[46:47]
	v_fma_f64 v[48:49], v[64:65], s[4:5], v[6:7]
	v_fma_f64 v[6:7], v[64:65], s[6:7], v[6:7]
	v_add_f64 v[62:63], v[62:63], v[18:19]
	v_fma_f64 v[64:65], v[8:9], s[4:5], v[10:11]
	v_fma_f64 v[8:9], v[8:9], s[6:7], v[10:11]
	v_add3_u32 v34, v111, v112, v78
	ds_write2_b64 v58, v[66:67], v[73:74] offset1:3
	ds_write_b64 v58, v[2:3] offset:48
	ds_write2_b64 v57, v[60:61], v[48:49] offset1:3
	ds_write_b64 v57, v[6:7] offset:48
	;; [unrolled: 2-line block ×3, first 2 shown]
	s_and_saveexec_b64 s[8:9], s[0:1]
	s_cbranch_execz .LBB0_24
; %bb.23:
	v_add_f64 v[2:3], v[22:23], v[30:31]
	v_add_f64 v[6:7], v[28:29], -v[32:33]
	v_add_f64 v[8:9], v[0:1], v[22:23]
	v_fma_f64 v[0:1], v[2:3], -0.5, v[0:1]
	v_add_f64 v[2:3], v[8:9], v[30:31]
	v_fma_f64 v[8:9], v[6:7], s[4:5], v[0:1]
	v_fma_f64 v[0:1], v[6:7], s[6:7], v[0:1]
	v_lshlrev_b32_sdwa v6, v59, v56 dst_sel:DWORD dst_unused:UNUSED_PAD src0_sel:DWORD src1_sel:BYTE_0
	v_add3_u32 v6, 0, v6, v78
	ds_write2_b64 v6, v[2:3], v[8:9] offset0:81 offset1:84
	ds_write_b64 v6, v[0:1] offset:696
.LBB0_24:
	s_or_b64 exec, exec, s[8:9]
	v_add_f64 v[0:1], v[54:55], v[14:15]
	v_add_f64 v[2:3], v[50:51], v[16:17]
	;; [unrolled: 1-line block ×4, first 2 shown]
	v_add_f64 v[10:11], v[20:21], -v[44:45]
	v_add_f64 v[20:21], v[24:25], v[50:51]
	v_add_f64 v[35:36], v[36:37], -v[46:47]
	v_add_f64 v[18:19], v[38:39], -v[18:19]
	v_fma_f64 v[0:1], v[0:1], -0.5, v[40:41]
	v_fma_f64 v[2:3], v[2:3], -0.5, v[24:25]
	v_add_f64 v[24:25], v[26:27], v[52:53]
	v_fma_f64 v[8:9], v[8:9], -0.5, v[26:27]
	v_add_f64 v[26:27], v[6:7], v[14:15]
	v_add_f64 v[37:38], v[20:21], v[16:17]
	s_waitcnt lgkmcnt(0)
	; wave barrier
	s_waitcnt lgkmcnt(0)
	v_fma_f64 v[39:40], v[10:11], s[6:7], v[0:1]
	v_fma_f64 v[41:42], v[10:11], s[4:5], v[0:1]
	;; [unrolled: 1-line block ×4, first 2 shown]
	v_add_f64 v[24:25], v[24:25], v[12:13]
	v_fma_f64 v[45:46], v[18:19], s[6:7], v[8:9]
	v_fma_f64 v[47:48], v[18:19], s[4:5], v[8:9]
	ds_read2_b64 v[0:3], v77 offset0:9 offset1:18
	ds_read2_b64 v[14:17], v77 offset0:27 offset1:36
	;; [unrolled: 1-line block ×4, first 2 shown]
	ds_read_b64 v[18:19], v76
	ds_read_b64 v[20:21], v77 offset:648
	s_waitcnt lgkmcnt(0)
	; wave barrier
	s_waitcnt lgkmcnt(0)
	ds_write2_b64 v58, v[26:27], v[39:40] offset1:3
	ds_write_b64 v58, v[41:42] offset:48
	ds_write2_b64 v57, v[37:38], v[43:44] offset1:3
	ds_write_b64 v57, v[35:36] offset:48
	;; [unrolled: 2-line block ×3, first 2 shown]
	s_and_saveexec_b64 s[4:5], s[0:1]
	s_cbranch_execz .LBB0_26
; %bb.25:
	v_add_f64 v[24:25], v[28:29], v[32:33]
	v_add_f64 v[26:27], v[4:5], v[28:29]
	v_add_f64 v[22:23], v[22:23], -v[30:31]
	s_mov_b32 s1, 0xbfebb67a
	s_mov_b32 s0, 0xe8584caa
	v_fma_f64 v[4:5], v[24:25], -0.5, v[4:5]
	v_add_f64 v[24:25], v[26:27], v[32:33]
	v_fma_f64 v[26:27], v[22:23], s[0:1], v[4:5]
	s_mov_b32 s1, 0x3febb67a
	v_fma_f64 v[4:5], v[22:23], s[0:1], v[4:5]
	v_mov_b32_e32 v22, 3
	v_lshlrev_b32_sdwa v22, v22, v56 dst_sel:DWORD dst_unused:UNUSED_PAD src0_sel:DWORD src1_sel:BYTE_0
	v_add3_u32 v22, 0, v22, v78
	ds_write2_b64 v22, v[24:25], v[26:27] offset0:81 offset1:84
	ds_write_b64 v22, v[4:5] offset:696
.LBB0_26:
	s_or_b64 exec, exec, s[4:5]
	s_waitcnt lgkmcnt(0)
	; wave barrier
	s_waitcnt lgkmcnt(0)
	s_and_saveexec_b64 s[0:1], vcc
	s_cbranch_execz .LBB0_28
; %bb.27:
	v_mul_u32_u24_e32 v4, 9, v75
	v_lshlrev_b32_e32 v4, 4, v4
	global_load_dwordx4 v[22:25], v4, s[12:13] offset:144
	global_load_dwordx4 v[26:29], v4, s[12:13] offset:128
	;; [unrolled: 1-line block ×9, first 2 shown]
	ds_read2_b64 v[58:61], v77 offset0:27 offset1:36
	ds_read2_b64 v[62:65], v77 offset0:45 offset1:54
	;; [unrolled: 1-line block ×4, first 2 shown]
	v_mul_lo_u32 v73, s3, v71
	v_mul_lo_u32 v74, s2, v72
	v_mad_u64_u32 v[66:67], s[0:1], s2, v71, 0
	ds_read_b64 v[4:5], v77 offset:648
	ds_read_b64 v[71:72], v76
	s_mov_b32 s0, 0x134454ff
	v_add3_u32 v67, v67, v74, v73
	s_mov_b32 s1, 0x3fee6f0e
	s_mov_b32 s7, 0xbfee6f0e
	;; [unrolled: 1-line block ×11, first 2 shown]
	s_waitcnt vmcnt(8)
	v_mul_f64 v[73:74], v[16:17], v[24:25]
	s_waitcnt lgkmcnt(5)
	v_mul_f64 v[24:25], v[60:61], v[24:25]
	s_waitcnt vmcnt(7)
	v_mul_f64 v[75:76], v[58:59], v[28:29]
	v_mul_f64 v[28:29], v[14:15], v[28:29]
	s_waitcnt vmcnt(6) lgkmcnt(1)
	v_mul_f64 v[86:87], v[4:5], v[32:33]
	v_mul_f64 v[32:33], v[20:21], v[32:33]
	s_waitcnt vmcnt(5)
	v_mul_f64 v[88:89], v[8:9], v[36:37]
	s_waitcnt vmcnt(4)
	;; [unrolled: 2-line block ×5, first 2 shown]
	v_mul_f64 v[96:97], v[82:83], v[52:53]
	v_mul_f64 v[48:49], v[6:7], v[48:49]
	;; [unrolled: 1-line block ×5, first 2 shown]
	s_waitcnt vmcnt(0)
	v_mul_f64 v[98:99], v[78:79], v[56:57]
	v_mul_f64 v[56:57], v[0:1], v[56:57]
	v_fma_f64 v[60:61], v[60:61], v[22:23], v[73:74]
	v_fma_f64 v[16:17], v[16:17], v[22:23], -v[24:25]
	v_fma_f64 v[14:15], v[14:15], v[26:27], -v[75:76]
	v_fma_f64 v[22:23], v[26:27], v[58:59], v[28:29]
	v_fma_f64 v[20:21], v[20:21], v[30:31], -v[86:87]
	v_fma_f64 v[4:5], v[30:31], v[4:5], v[32:33]
	v_fma_f64 v[24:25], v[64:65], v[34:35], v[88:89]
	;; [unrolled: 1-line block ×4, first 2 shown]
	v_fma_f64 v[6:7], v[6:7], v[46:47], -v[94:95]
	v_fma_f64 v[10:11], v[10:11], v[50:51], -v[96:97]
	v_fma_f64 v[30:31], v[46:47], v[62:63], v[48:49]
	v_fma_f64 v[32:33], v[50:51], v[82:83], v[52:53]
	v_mul_f64 v[44:45], v[84:85], v[44:45]
	v_fma_f64 v[8:9], v[8:9], v[34:35], -v[36:37]
	v_fma_f64 v[2:3], v[2:3], v[38:39], -v[40:41]
	v_fma_f64 v[34:35], v[54:55], v[78:79], v[56:57]
	v_add_f64 v[36:37], v[26:27], -v[60:61]
	v_add_f64 v[38:39], v[28:29], -v[24:25]
	;; [unrolled: 1-line block ×3, first 2 shown]
	v_add_f64 v[48:49], v[26:27], v[28:29]
	v_add_f64 v[50:51], v[20:21], -v[10:11]
	v_add_f64 v[56:57], v[60:61], -v[26:27]
	;; [unrolled: 1-line block ×3, first 2 shown]
	v_add_f64 v[77:78], v[30:31], v[32:33]
	v_add_f64 v[79:80], v[22:23], v[4:5]
	v_fma_f64 v[12:13], v[12:13], v[42:43], -v[44:45]
	v_fma_f64 v[0:1], v[0:1], v[54:55], -v[98:99]
	v_add_f64 v[40:41], v[16:17], -v[8:9]
	v_add_f64 v[42:43], v[60:61], v[24:25]
	v_add_f64 v[52:53], v[22:23], -v[30:31]
	v_add_f64 v[54:55], v[4:5], -v[32:33]
	;; [unrolled: 1-line block ×7, first 2 shown]
	v_add_f64 v[85:86], v[22:23], v[34:35]
	v_add_f64 v[89:90], v[14:15], v[20:21]
	;; [unrolled: 1-line block ×3, first 2 shown]
	s_waitcnt lgkmcnt(0)
	v_fma_f64 v[38:39], v[48:49], -0.5, v[71:72]
	v_add_f64 v[46:47], v[46:47], v[50:51]
	v_add_f64 v[50:51], v[56:57], v[58:59]
	v_fma_f64 v[56:57], v[77:78], -0.5, v[34:35]
	v_fma_f64 v[34:35], v[79:80], -0.5, v[34:35]
	v_add_f64 v[44:45], v[2:3], -v[12:13]
	v_add_f64 v[83:84], v[14:15], -v[20:21]
	;; [unrolled: 1-line block ×3, first 2 shown]
	v_add_f64 v[91:92], v[6:7], v[10:11]
	v_add_f64 v[48:49], v[52:53], v[54:55]
	v_fma_f64 v[42:43], v[42:43], -0.5, v[71:72]
	v_add_f64 v[52:53], v[62:63], v[64:65]
	v_add_f64 v[54:55], v[73:74], v[75:76]
	v_fma_f64 v[58:59], v[89:90], -0.5, v[0:1]
	v_fma_f64 v[64:65], v[40:41], s[6:7], v[38:39]
	v_fma_f64 v[38:39], v[40:41], s[0:1], v[38:39]
	;; [unrolled: 1-line block ×4, first 2 shown]
	v_add_f64 v[22:23], v[22:23], -v[4:5]
	v_fma_f64 v[62:63], v[91:92], -0.5, v[0:1]
	v_fma_f64 v[73:74], v[44:45], s[0:1], v[42:43]
	v_fma_f64 v[42:43], v[44:45], s[6:7], v[42:43]
	;; [unrolled: 1-line block ×8, first 2 shown]
	v_add_f64 v[71:72], v[26:27], v[71:72]
	v_add_f64 v[30:31], v[30:31], v[85:86]
	v_fma_f64 v[77:78], v[83:84], s[0:1], v[56:57]
	v_fma_f64 v[85:86], v[22:23], s[6:7], v[62:63]
	;; [unrolled: 1-line block ×9, first 2 shown]
	v_add_f64 v[54:55], v[60:61], v[71:72]
	v_add_f64 v[30:31], v[32:33], v[30:31]
	v_fma_f64 v[32:33], v[81:82], s[2:3], v[77:78]
	v_fma_f64 v[56:57], v[83:84], s[6:7], v[56:57]
	;; [unrolled: 1-line block ×6, first 2 shown]
	v_add_f64 v[40:41], v[24:25], v[54:55]
	v_fma_f64 v[64:65], v[50:51], s[8:9], v[64:65]
	v_fma_f64 v[38:39], v[50:51], s[8:9], v[38:39]
	v_add_f64 v[50:51], v[16:17], v[8:9]
	v_fma_f64 v[58:59], v[87:88], s[4:5], v[85:86]
	v_fma_f64 v[32:33], v[48:49], s[8:9], v[32:33]
	v_add_f64 v[26:27], v[26:27], -v[28:29]
	v_fma_f64 v[56:57], v[81:82], s[4:5], v[56:57]
	v_add_f64 v[28:29], v[28:29], v[40:41]
	v_add_f64 v[40:41], v[2:3], v[12:13]
	v_fma_f64 v[62:63], v[87:88], s[2:3], v[62:63]
	v_fma_f64 v[50:51], v[50:51], -0.5, v[18:19]
	v_fma_f64 v[58:59], v[46:47], s[8:9], v[58:59]
	v_mul_f64 v[71:72], v[32:33], s[12:13]
	v_add_f64 v[0:1], v[14:15], v[0:1]
	v_fma_f64 v[48:49], v[48:49], s[8:9], v[56:57]
	v_add_f64 v[56:57], v[2:3], -v[16:17]
	v_fma_f64 v[40:41], v[40:41], -0.5, v[18:19]
	v_add_f64 v[18:19], v[18:19], v[2:3]
	v_fma_f64 v[46:47], v[46:47], s[8:9], v[62:63]
	v_add_f64 v[62:63], v[12:13], -v[8:9]
	v_add_f64 v[24:25], v[60:61], -v[24:25]
	v_fma_f64 v[14:15], v[26:27], s[6:7], v[50:51]
	v_fma_f64 v[54:55], v[58:59], s[4:5], -v[71:72]
	v_mul_f64 v[58:59], v[58:59], s[12:13]
	v_add_f64 v[71:72], v[4:5], v[30:31]
	v_mul_f64 v[4:5], v[44:45], s[8:9]
	v_add_f64 v[30:31], v[16:17], -v[2:3]
	v_add_f64 v[60:61], v[8:9], -v[12:13]
	v_add_f64 v[16:17], v[18:19], v[16:17]
	v_add_f64 v[0:1], v[6:7], v[0:1]
	;; [unrolled: 1-line block ×3, first 2 shown]
	v_fma_f64 v[50:51], v[26:27], s[0:1], v[50:51]
	v_fma_f64 v[14:15], v[24:25], s[4:5], v[14:15]
	v_fma_f64 v[32:33], v[32:33], s[2:3], -v[58:59]
	v_fma_f64 v[58:59], v[42:43], s[6:7], -v[4:5]
	v_add_f64 v[4:5], v[30:31], v[60:61]
	v_fma_f64 v[30:31], v[24:25], s[0:1], v[40:41]
	v_fma_f64 v[40:41], v[24:25], s[6:7], v[40:41]
	v_mul_f64 v[18:19], v[22:23], s[6:7]
	v_mul_f64 v[60:61], v[46:47], s[4:5]
	v_add_f64 v[8:9], v[16:17], v[8:9]
	v_add_f64 v[0:1], v[10:11], v[0:1]
	v_fma_f64 v[24:25], v[24:25], s[2:3], v[50:51]
	v_fma_f64 v[50:51], v[56:57], s[8:9], v[14:15]
	v_mul_f64 v[14:15], v[48:49], s[2:3]
	v_fma_f64 v[30:31], v[26:27], s[4:5], v[30:31]
	v_fma_f64 v[26:27], v[26:27], s[2:3], v[40:41]
	;; [unrolled: 1-line block ×3, first 2 shown]
	v_mul_f64 v[34:35], v[34:35], s[0:1]
	v_mul_f64 v[18:19], v[42:43], s[8:9]
	v_fma_f64 v[42:43], v[48:49], s[12:13], v[60:61]
	v_add_f64 v[73:74], v[12:13], v[8:9]
	v_add_f64 v[75:76], v[20:21], v[0:1]
	v_fma_f64 v[56:57], v[56:57], s[8:9], v[24:25]
	v_fma_f64 v[46:47], v[46:47], s[12:13], v[14:15]
	;; [unrolled: 1-line block ×5, first 2 shown]
	v_fma_f64 v[44:45], v[44:45], s[0:1], -v[18:19]
	v_add_f64 v[10:11], v[38:39], -v[40:41]
	v_add_f64 v[30:31], v[38:39], v[40:41]
	v_lshlrev_b64 v[40:41], 4, v[66:67]
	v_add_f64 v[14:15], v[36:37], -v[42:43]
	v_add_f64 v[34:35], v[36:37], v[42:43]
	v_add_f64 v[38:39], v[28:29], v[71:72]
	;; [unrolled: 1-line block ×3, first 2 shown]
	v_mov_b32_e32 v42, s11
	v_add_co_u32_e32 v43, vcc, s10, v40
	v_add_f64 v[0:1], v[50:51], -v[32:33]
	v_add_f64 v[20:21], v[50:51], v[32:33]
	v_add_f64 v[32:33], v[56:57], v[46:47]
	v_addc_co_u32_e32 v42, vcc, v42, v41, vcc
	v_lshlrev_b64 v[40:41], 4, v[68:69]
	v_add_f64 v[18:19], v[28:29], -v[71:72]
	v_add_f64 v[28:29], v[60:61], v[62:63]
	v_add_f64 v[26:27], v[64:65], v[58:59]
	;; [unrolled: 1-line block ×3, first 2 shown]
	v_mov_b32_e32 v71, 0
	v_add_co_u32_e32 v43, vcc, v43, v40
	v_add_f64 v[22:23], v[52:53], v[54:55]
	v_addc_co_u32_e32 v42, vcc, v42, v41, vcc
	v_lshlrev_b64 v[40:41], 4, v[70:71]
	v_add_f64 v[16:17], v[73:74], -v[75:76]
	v_add_f64 v[12:13], v[56:57], -v[46:47]
	v_add_co_u32_e32 v40, vcc, v43, v40
	v_add_f64 v[8:9], v[60:61], -v[62:63]
	v_addc_co_u32_e32 v41, vcc, v42, v41, vcc
	v_add_f64 v[2:3], v[52:53], -v[54:55]
	v_add_f64 v[6:7], v[64:65], -v[58:59]
	;; [unrolled: 1-line block ×3, first 2 shown]
	global_store_dwordx4 v[40:41], v[36:39], off
	global_store_dwordx4 v[40:41], v[32:35], off offset:144
	global_store_dwordx4 v[40:41], v[28:31], off offset:288
	;; [unrolled: 1-line block ×9, first 2 shown]
.LBB0_28:
	s_endpgm
	.section	.rodata,"a",@progbits
	.p2align	6, 0x0
	.amdhsa_kernel fft_rtc_fwd_len90_factors_3_3_10_wgs_63_tpt_9_halfLds_dp_op_CI_CI_unitstride_sbrr_dirReg
		.amdhsa_group_segment_fixed_size 0
		.amdhsa_private_segment_fixed_size 0
		.amdhsa_kernarg_size 104
		.amdhsa_user_sgpr_count 6
		.amdhsa_user_sgpr_private_segment_buffer 1
		.amdhsa_user_sgpr_dispatch_ptr 0
		.amdhsa_user_sgpr_queue_ptr 0
		.amdhsa_user_sgpr_kernarg_segment_ptr 1
		.amdhsa_user_sgpr_dispatch_id 0
		.amdhsa_user_sgpr_flat_scratch_init 0
		.amdhsa_user_sgpr_private_segment_size 0
		.amdhsa_uses_dynamic_stack 0
		.amdhsa_system_sgpr_private_segment_wavefront_offset 0
		.amdhsa_system_sgpr_workgroup_id_x 1
		.amdhsa_system_sgpr_workgroup_id_y 0
		.amdhsa_system_sgpr_workgroup_id_z 0
		.amdhsa_system_sgpr_workgroup_info 0
		.amdhsa_system_vgpr_workitem_id 0
		.amdhsa_next_free_vgpr 113
		.amdhsa_next_free_sgpr 28
		.amdhsa_reserve_vcc 1
		.amdhsa_reserve_flat_scratch 0
		.amdhsa_float_round_mode_32 0
		.amdhsa_float_round_mode_16_64 0
		.amdhsa_float_denorm_mode_32 3
		.amdhsa_float_denorm_mode_16_64 3
		.amdhsa_dx10_clamp 1
		.amdhsa_ieee_mode 1
		.amdhsa_fp16_overflow 0
		.amdhsa_exception_fp_ieee_invalid_op 0
		.amdhsa_exception_fp_denorm_src 0
		.amdhsa_exception_fp_ieee_div_zero 0
		.amdhsa_exception_fp_ieee_overflow 0
		.amdhsa_exception_fp_ieee_underflow 0
		.amdhsa_exception_fp_ieee_inexact 0
		.amdhsa_exception_int_div_zero 0
	.end_amdhsa_kernel
	.text
.Lfunc_end0:
	.size	fft_rtc_fwd_len90_factors_3_3_10_wgs_63_tpt_9_halfLds_dp_op_CI_CI_unitstride_sbrr_dirReg, .Lfunc_end0-fft_rtc_fwd_len90_factors_3_3_10_wgs_63_tpt_9_halfLds_dp_op_CI_CI_unitstride_sbrr_dirReg
                                        ; -- End function
	.section	.AMDGPU.csdata,"",@progbits
; Kernel info:
; codeLenInByte = 5656
; NumSgprs: 32
; NumVgprs: 113
; ScratchSize: 0
; MemoryBound: 1
; FloatMode: 240
; IeeeMode: 1
; LDSByteSize: 0 bytes/workgroup (compile time only)
; SGPRBlocks: 3
; VGPRBlocks: 28
; NumSGPRsForWavesPerEU: 32
; NumVGPRsForWavesPerEU: 113
; Occupancy: 2
; WaveLimiterHint : 1
; COMPUTE_PGM_RSRC2:SCRATCH_EN: 0
; COMPUTE_PGM_RSRC2:USER_SGPR: 6
; COMPUTE_PGM_RSRC2:TRAP_HANDLER: 0
; COMPUTE_PGM_RSRC2:TGID_X_EN: 1
; COMPUTE_PGM_RSRC2:TGID_Y_EN: 0
; COMPUTE_PGM_RSRC2:TGID_Z_EN: 0
; COMPUTE_PGM_RSRC2:TIDIG_COMP_CNT: 0
	.type	__hip_cuid_c7e72e52c7b79b59,@object ; @__hip_cuid_c7e72e52c7b79b59
	.section	.bss,"aw",@nobits
	.globl	__hip_cuid_c7e72e52c7b79b59
__hip_cuid_c7e72e52c7b79b59:
	.byte	0                               ; 0x0
	.size	__hip_cuid_c7e72e52c7b79b59, 1

	.ident	"AMD clang version 19.0.0git (https://github.com/RadeonOpenCompute/llvm-project roc-6.4.0 25133 c7fe45cf4b819c5991fe208aaa96edf142730f1d)"
	.section	".note.GNU-stack","",@progbits
	.addrsig
	.addrsig_sym __hip_cuid_c7e72e52c7b79b59
	.amdgpu_metadata
---
amdhsa.kernels:
  - .args:
      - .actual_access:  read_only
        .address_space:  global
        .offset:         0
        .size:           8
        .value_kind:     global_buffer
      - .offset:         8
        .size:           8
        .value_kind:     by_value
      - .actual_access:  read_only
        .address_space:  global
        .offset:         16
        .size:           8
        .value_kind:     global_buffer
      - .actual_access:  read_only
        .address_space:  global
        .offset:         24
        .size:           8
        .value_kind:     global_buffer
      - .actual_access:  read_only
        .address_space:  global
        .offset:         32
        .size:           8
        .value_kind:     global_buffer
      - .offset:         40
        .size:           8
        .value_kind:     by_value
      - .actual_access:  read_only
        .address_space:  global
        .offset:         48
        .size:           8
        .value_kind:     global_buffer
      - .actual_access:  read_only
        .address_space:  global
        .offset:         56
        .size:           8
        .value_kind:     global_buffer
      - .offset:         64
        .size:           4
        .value_kind:     by_value
      - .actual_access:  read_only
        .address_space:  global
        .offset:         72
        .size:           8
        .value_kind:     global_buffer
      - .actual_access:  read_only
        .address_space:  global
        .offset:         80
        .size:           8
        .value_kind:     global_buffer
      - .actual_access:  read_only
        .address_space:  global
        .offset:         88
        .size:           8
        .value_kind:     global_buffer
      - .actual_access:  write_only
        .address_space:  global
        .offset:         96
        .size:           8
        .value_kind:     global_buffer
    .group_segment_fixed_size: 0
    .kernarg_segment_align: 8
    .kernarg_segment_size: 104
    .language:       OpenCL C
    .language_version:
      - 2
      - 0
    .max_flat_workgroup_size: 63
    .name:           fft_rtc_fwd_len90_factors_3_3_10_wgs_63_tpt_9_halfLds_dp_op_CI_CI_unitstride_sbrr_dirReg
    .private_segment_fixed_size: 0
    .sgpr_count:     32
    .sgpr_spill_count: 0
    .symbol:         fft_rtc_fwd_len90_factors_3_3_10_wgs_63_tpt_9_halfLds_dp_op_CI_CI_unitstride_sbrr_dirReg.kd
    .uniform_work_group_size: 1
    .uses_dynamic_stack: false
    .vgpr_count:     113
    .vgpr_spill_count: 0
    .wavefront_size: 64
amdhsa.target:   amdgcn-amd-amdhsa--gfx906
amdhsa.version:
  - 1
  - 2
...

	.end_amdgpu_metadata
